;; amdgpu-corpus repo=ROCm/rocFFT kind=compiled arch=gfx950 opt=O3
	.text
	.amdgcn_target "amdgcn-amd-amdhsa--gfx950"
	.amdhsa_code_object_version 6
	.protected	fft_rtc_fwd_len17_factors_17_wgs_120_tpt_1_sp_op_CI_CI_sbrc_unaligned ; -- Begin function fft_rtc_fwd_len17_factors_17_wgs_120_tpt_1_sp_op_CI_CI_sbrc_unaligned
	.globl	fft_rtc_fwd_len17_factors_17_wgs_120_tpt_1_sp_op_CI_CI_sbrc_unaligned
	.p2align	8
	.type	fft_rtc_fwd_len17_factors_17_wgs_120_tpt_1_sp_op_CI_CI_sbrc_unaligned,@function
fft_rtc_fwd_len17_factors_17_wgs_120_tpt_1_sp_op_CI_CI_sbrc_unaligned: ; @fft_rtc_fwd_len17_factors_17_wgs_120_tpt_1_sp_op_CI_CI_sbrc_unaligned
; %bb.0:
	s_load_dwordx8 s[8:15], s[0:1], 0x8
	s_mov_b32 s26, 0
	s_mov_b64 s[30:31], 2
	s_mov_b32 s25, s26
	s_waitcnt lgkmcnt(0)
	s_load_dword s33, s[10:11], 0x8
	s_load_dwordx4 s[20:23], s[12:13], 0x0
	s_load_dwordx4 s[16:19], s[14:15], 0x0
	v_cmp_gt_u64_e64 s[4:5], s[8:9], 2
	s_waitcnt lgkmcnt(0)
	s_add_i32 s3, s33, -1
	s_mul_hi_u32 s3, s3, 0x88888889
	s_lshr_b32 s3, s3, 6
	s_add_i32 s3, s3, 1
	v_cvt_f32_u32_e32 v1, s3
	s_sub_i32 s6, 0, s3
	v_rcp_iflag_f32_e32 v1, v1
	s_nop 0
	v_mul_f32_e32 v1, 0x4f7ffffe, v1
	v_cvt_u32_f32_e32 v1, v1
	s_nop 0
	v_readfirstlane_b32 s7, v1
	s_mul_i32 s6, s6, s7
	s_mul_hi_u32 s6, s7, s6
	s_add_i32 s7, s7, s6
	s_mul_hi_u32 s6, s2, s7
	s_mul_i32 s7, s6, s3
	s_sub_i32 s7, s2, s7
	s_add_i32 s19, s6, 1
	s_sub_i32 s23, s7, s3
	s_cmp_ge_u32 s7, s3
	s_cselect_b32 s6, s19, s6
	s_cselect_b32 s7, s23, s7
	s_add_i32 s19, s6, 1
	s_cmp_ge_u32 s7, s3
	s_cselect_b32 s23, s19, s6
	s_and_b64 vcc, exec, s[4:5]
	s_mul_i32 s4, s23, s3
	s_sub_i32 s19, s2, s4
	s_mulk_i32 s19, 0x78
	s_mul_i32 s4, s17, s19
	s_mul_hi_u32 s5, s16, s19
	s_mul_i32 s24, s19, s22
	s_mul_i32 s6, s16, s19
	s_add_i32 s7, s5, s4
	s_cbranch_vccz .LBB0_8
; %bb.1:
	s_mov_b32 s28, 3
	v_mov_b64_e32 v[2:3], s[8:9]
.LBB0_2:                                ; =>This Inner Loop Header: Depth=1
	s_lshl_b64 s[30:31], s[30:31], 3
	s_add_u32 s4, s10, s30
	s_addc_u32 s5, s11, s31
	s_load_dwordx2 s[34:35], s[4:5], 0x0
	s_waitcnt lgkmcnt(0)
	s_mov_b32 s27, s35
	s_cmp_lg_u64 s[26:27], 0
	s_cbranch_scc0 .LBB0_7
; %bb.3:                                ;   in Loop: Header=BB0_2 Depth=1
	v_cvt_f32_u32_e32 v1, s34
	v_cvt_f32_u32_e32 v4, s35
	s_sub_u32 s4, 0, s34
	s_subb_u32 s5, 0, s35
	v_fmac_f32_e32 v1, 0x4f800000, v4
	v_rcp_f32_e32 v1, v1
	s_nop 0
	v_mul_f32_e32 v1, 0x5f7ffffc, v1
	v_mul_f32_e32 v4, 0x2f800000, v1
	v_trunc_f32_e32 v4, v4
	v_fmac_f32_e32 v1, 0xcf800000, v4
	v_cvt_u32_f32_e32 v4, v4
	v_cvt_u32_f32_e32 v1, v1
	v_readfirstlane_b32 s27, v4
	v_readfirstlane_b32 s29, v1
	s_mul_i32 s36, s4, s27
	s_mul_hi_u32 s38, s4, s29
	s_mul_i32 s37, s5, s29
	s_add_i32 s36, s38, s36
	s_mul_i32 s39, s4, s29
	s_add_i32 s36, s36, s37
	s_mul_hi_u32 s37, s29, s36
	s_mul_i32 s38, s29, s36
	s_mul_hi_u32 s29, s29, s39
	s_add_u32 s29, s29, s38
	s_addc_u32 s37, 0, s37
	s_mul_hi_u32 s40, s27, s39
	s_mul_i32 s39, s27, s39
	s_add_u32 s29, s29, s39
	s_mul_hi_u32 s38, s27, s36
	s_addc_u32 s29, s37, s40
	s_addc_u32 s37, s38, 0
	s_mul_i32 s36, s27, s36
	s_add_u32 s29, s29, s36
	s_addc_u32 s36, 0, s37
	v_add_co_u32_e32 v1, vcc, s29, v1
	s_cmp_lg_u64 vcc, 0
	s_addc_u32 s27, s27, s36
	v_readfirstlane_b32 s36, v1
	s_mul_i32 s29, s4, s27
	s_mul_hi_u32 s37, s4, s36
	s_add_i32 s29, s37, s29
	s_mul_i32 s5, s5, s36
	s_add_i32 s29, s29, s5
	s_mul_i32 s4, s4, s36
	s_mul_hi_u32 s37, s27, s4
	s_mul_i32 s38, s27, s4
	s_mul_i32 s40, s36, s29
	s_mul_hi_u32 s4, s36, s4
	s_mul_hi_u32 s39, s36, s29
	s_add_u32 s4, s4, s40
	s_addc_u32 s36, 0, s39
	s_add_u32 s4, s4, s38
	s_mul_hi_u32 s5, s27, s29
	s_addc_u32 s4, s36, s37
	s_addc_u32 s5, s5, 0
	s_mul_i32 s29, s27, s29
	s_add_u32 s4, s4, s29
	s_addc_u32 s5, 0, s5
	v_add_co_u32_e32 v1, vcc, s4, v1
	s_cmp_lg_u64 vcc, 0
	s_addc_u32 s4, s27, s5
	v_readfirstlane_b32 s27, v1
	s_mul_hi_u32 s5, s23, s4
	s_mul_i32 s4, s23, s4
	s_mul_hi_u32 s27, s23, s27
	s_add_u32 s4, s27, s4
	s_addc_u32 s27, 0, s5
	s_mul_i32 s4, s35, s27
	s_mul_hi_u32 s5, s34, s27
	s_add_i32 s29, s5, s4
	s_mul_i32 s5, s34, s27
	v_mov_b32_e32 v1, s5
	s_sub_i32 s4, 0, s29
	v_sub_co_u32_e32 v1, vcc, s23, v1
	s_cmp_lg_u64 vcc, 0
	s_subb_u32 s36, s4, s35
	v_subrev_co_u32_e64 v4, s[4:5], s34, v1
	s_cmp_lg_u64 s[4:5], 0
	s_subb_u32 s4, s36, 0
	s_cmp_ge_u32 s4, s35
	v_readfirstlane_b32 s36, v4
	s_cselect_b32 s5, -1, 0
	s_cmp_ge_u32 s36, s34
	s_cselect_b32 s36, -1, 0
	s_cmp_eq_u32 s4, s35
	s_cselect_b32 s4, s36, s5
	s_add_u32 s5, s27, 1
	s_addc_u32 s36, 0, 0
	s_add_u32 s37, s27, 2
	s_addc_u32 s38, 0, 0
	s_cmp_lg_u32 s4, 0
	s_cselect_b32 s4, s37, s5
	s_cselect_b32 s5, s38, s36
	s_cmp_lg_u64 vcc, 0
	s_subb_u32 s29, 0, s29
	s_cmp_ge_u32 s29, s35
	v_readfirstlane_b32 s37, v1
	s_cselect_b32 s36, -1, 0
	s_cmp_ge_u32 s37, s34
	s_cselect_b32 s37, -1, 0
	s_cmp_eq_u32 s29, s35
	s_cselect_b32 s29, s37, s36
	s_cmp_lg_u32 s29, 0
	s_cselect_b32 s5, s5, 0
	s_cselect_b32 s4, s4, s27
	s_cbranch_execnz .LBB0_5
.LBB0_4:                                ;   in Loop: Header=BB0_2 Depth=1
	v_cvt_f32_u32_e32 v1, s34
	s_sub_i32 s4, 0, s34
	v_rcp_iflag_f32_e32 v1, v1
	s_nop 0
	v_mul_f32_e32 v1, 0x4f7ffffe, v1
	v_cvt_u32_f32_e32 v1, v1
	s_nop 0
	v_readfirstlane_b32 s5, v1
	s_mul_i32 s4, s4, s5
	s_mul_hi_u32 s4, s5, s4
	s_add_i32 s5, s5, s4
	s_mul_hi_u32 s4, s23, s5
	s_mul_i32 s27, s4, s34
	s_sub_i32 s27, s23, s27
	s_add_i32 s5, s4, 1
	s_sub_i32 s29, s27, s34
	s_cmp_ge_u32 s27, s34
	s_cselect_b32 s4, s5, s4
	s_cselect_b32 s27, s29, s27
	s_add_i32 s5, s4, 1
	s_cmp_ge_u32 s27, s34
	s_cselect_b32 s4, s5, s4
	s_mov_b32 s5, s26
.LBB0_5:                                ;   in Loop: Header=BB0_2 Depth=1
	s_mul_i32 s27, s4, s35
	s_mul_hi_u32 s29, s4, s34
	s_add_i32 s27, s29, s27
	s_mul_i32 s5, s5, s34
	s_add_i32 s27, s27, s5
	s_mul_i32 s5, s4, s34
	s_sub_u32 s5, s23, s5
	s_subb_u32 s23, 0, s27
	s_add_u32 s36, s12, s30
	s_addc_u32 s37, s13, s31
	s_load_dwordx2 s[36:37], s[36:37], 0x0
	s_mul_i32 s3, s3, s34
	s_waitcnt lgkmcnt(0)
	s_mul_i32 s27, s36, s23
	s_mul_hi_u32 s29, s36, s5
	s_add_i32 s27, s29, s27
	s_mul_i32 s29, s37, s5
	s_add_i32 s27, s27, s29
	s_mul_i32 s29, s36, s5
	s_add_u32 s24, s29, s24
	s_addc_u32 s25, s27, s25
	s_add_u32 s30, s14, s30
	s_addc_u32 s31, s15, s31
	s_load_dwordx2 s[30:31], s[30:31], 0x0
	s_mov_b32 s29, s26
	v_cmp_ge_u64_e32 vcc, s[28:29], v[2:3]
	s_waitcnt lgkmcnt(0)
	s_mul_i32 s23, s30, s23
	s_mul_hi_u32 s27, s30, s5
	s_add_i32 s23, s27, s23
	s_mul_i32 s27, s31, s5
	s_add_i32 s23, s23, s27
	s_mul_i32 s5, s30, s5
	s_add_u32 s6, s5, s6
	s_addc_u32 s7, s23, s7
	s_mov_b64 s[30:31], s[28:29]
	s_add_i32 s28, s28, 1
	s_cbranch_vccnz .LBB0_9
; %bb.6:                                ;   in Loop: Header=BB0_2 Depth=1
	s_mov_b32 s23, s4
	s_branch .LBB0_2
.LBB0_7:                                ;   in Loop: Header=BB0_2 Depth=1
                                        ; implicit-def: $sgpr4_sgpr5
	s_branch .LBB0_4
.LBB0_8:
	v_mov_b32_e32 v128, s23
	s_branch .LBB0_10
.LBB0_9:
	v_cvt_f32_u32_e32 v1, s3
	s_sub_i32 s4, 0, s3
	v_rcp_iflag_f32_e32 v1, v1
	s_nop 0
	v_mul_f32_e32 v1, 0x4f7ffffe, v1
	v_cvt_u32_f32_e32 v1, v1
	v_mul_lo_u32 v2, s4, v1
	v_mul_hi_u32 v2, v1, v2
	v_add_u32_e32 v1, v1, v2
	v_mul_hi_u32 v1, s2, v1
	v_mul_lo_u32 v2, v1, s3
	v_sub_u32_e32 v2, s2, v2
	v_add_u32_e32 v3, 1, v1
	v_subrev_u32_e32 v4, s3, v2
	v_cmp_le_u32_e32 vcc, s3, v2
	s_nop 1
	v_cndmask_b32_e32 v1, v1, v3, vcc
	v_cndmask_b32_e32 v2, v2, v4, vcc
	v_add_u32_e32 v3, 1, v1
	v_cmp_le_u32_e32 vcc, s3, v2
	s_nop 1
	v_cndmask_b32_e32 v128, v1, v3, vcc
.LBB0_10:
	s_lshl_b64 s[4:5], s[8:9], 3
	s_add_u32 s8, s12, s4
	s_addc_u32 s9, s13, s5
	s_load_dwordx2 s[8:9], s[8:9], 0x0
	s_add_u32 s4, s14, s4
	s_addc_u32 s5, s15, s5
	s_load_dwordx4 s[0:3], s[0:1], 0x58
	s_movk_i32 s12, 0x78
	s_load_dwordx2 s[4:5], s[4:5], 0x0
	s_waitcnt lgkmcnt(0)
	v_mul_lo_u32 v1, s9, v128
	v_mul_hi_u32 v3, s8, v128
	v_mul_lo_u32 v2, s8, v128
	s_add_i32 s8, s19, 0x78
	v_add_u32_e32 v3, v3, v1
	s_cmp_le_u32 s8, s33
	v_lshl_add_u64 v[2:3], v[2:3], 0, s[24:25]
	s_cselect_b64 s[8:9], -1, 0
	s_mov_b64 s[10:11], -1
	s_and_b64 vcc, exec, s[8:9]
	v_lshlrev_b64 v[4:5], 3, v[2:3]
	s_cbranch_vccnz .LBB0_17
; %bb.11:
	v_sub_u32_e32 v1, 0x7f7, v0
	s_mov_b32 s10, 0x2222223
	v_mul_hi_u32 v1, v1, s10
	v_add_u32_e32 v9, 1, v1
	v_and_b32_e32 v8, 62, v9
	v_lshl_add_u64 v[2:3], s[0:1], 0, v[4:5]
	v_mov_b32_e32 v1, v0
	s_mov_b32 s13, s20
	s_mov_b32 s14, s21
	s_mov_b32 s15, s20
	s_mov_b32 s23, s21
	s_mov_b32 s24, s22
	s_mov_b32 s25, s22
	s_mov_b32 s26, 0
	s_mov_b64 s[10:11], 0
	s_mov_b32 s27, 0x5040100
	s_mov_b32 s28, 0xf0f1
	v_mov_b32_e32 v7, 0
	v_mov_b32_e32 v10, v8
.LBB0_12:                               ; =>This Inner Loop Header: Depth=1
	v_add_u32_e32 v11, s12, v1
	v_add_u32_e32 v22, s26, v0
	v_mul_u32_u24_sdwa v6, v22, s28 dst_sel:DWORD dst_unused:UNUSED_PAD src0_sel:WORD_0 src1_sel:DWORD
	v_mul_u32_u24_sdwa v12, v11, s28 dst_sel:DWORD dst_unused:UNUSED_PAD src0_sel:WORD_0 src1_sel:DWORD
	v_lshrrev_b32_e32 v6, 20, v6
	v_lshrrev_b32_e32 v12, 20, v12
	v_perm_b32 v15, v12, v6, s27
	v_perm_b32 v14, v11, v22, s27
	v_pk_mul_lo_u16 v15, v15, 17 op_sel_hi:[1,0]
	v_mul_lo_u32 v6, s24, v6
	v_pk_sub_i16 v14, v14, v15
	v_mov_b32_e32 v13, v7
	v_and_b32_e32 v21, 0xffff, v14
	v_lshrrev_b32_e32 v19, 16, v14
	v_mad_u64_u32 v[16:17], s[30:31], s13, v21, 0
	v_mad_u64_u32 v[14:15], s[30:31], s15, v19, 0
	v_mov_b32_e32 v20, v17
	v_mov_b32_e32 v18, v15
	v_mad_u64_u32 v[20:21], s[30:31], s14, v21, v[20:21]
	v_mad_u64_u32 v[18:19], s[30:31], s23, v19, v[18:19]
	v_mov_b32_e32 v17, v20
	v_mov_b32_e32 v15, v18
	v_lshl_add_u64 v[16:17], v[16:17], 3, v[2:3]
	v_mul_lo_u32 v12, s25, v12
	v_lshl_add_u64 v[14:15], v[14:15], 3, v[2:3]
	v_lshl_add_u64 v[16:17], v[6:7], 3, v[16:17]
	;; [unrolled: 1-line block ×3, first 2 shown]
	global_load_dwordx2 v[14:15], v[16:17], off
	global_load_dwordx2 v[18:19], v[12:13], off
	v_add_u32_e32 v10, -2, v10
	s_addk_i32 s26, 0xf0
	s_addk_i32 s12, 0xf0
	v_cmp_eq_u32_e32 vcc, 0, v10
	v_lshl_add_u32 v6, v22, 3, 0
	s_or_b64 s[10:11], vcc, s[10:11]
	v_lshl_add_u32 v11, v11, 3, 0
	s_waitcnt vmcnt(1)
	ds_write_b64 v6, v[14:15]
	s_waitcnt vmcnt(0)
	ds_write_b64 v11, v[18:19]
	s_andn2_b64 exec, exec, s[10:11]
	s_cbranch_execnz .LBB0_12
; %bb.13:
	s_or_b64 exec, exec, s[10:11]
	v_cmp_ne_u32_e32 vcc, v9, v8
	s_and_saveexec_b64 s[10:11], vcc
	s_cbranch_execz .LBB0_16
; %bb.14:
	s_movk_i32 s12, 0x78
	v_mad_u32_u24 v1, v8, s12, v0
	v_lshl_add_u32 v8, v1, 3, 0
	s_mov_b64 s[12:13], 0
	s_mov_b32 s14, 0xf0f1
	v_mov_b32_e32 v7, 0
	s_movk_i32 s15, 0x7f7
.LBB0_15:                               ; =>This Inner Loop Header: Depth=1
	v_mul_u32_u24_sdwa v6, v1, s14 dst_sel:DWORD dst_unused:UNUSED_PAD src0_sel:WORD_0 src1_sel:DWORD
	v_lshrrev_b32_e32 v6, 20, v6
	v_mul_lo_u16_e32 v9, 17, v6
	v_sub_u16_e32 v9, v1, v9
	v_mad_u64_u32 v[10:11], s[24:25], s20, v9, 0
	v_mov_b32_e32 v12, v11
	v_mad_u64_u32 v[12:13], s[24:25], s21, v9, v[12:13]
	v_mov_b32_e32 v11, v12
	v_mul_lo_u32 v6, s22, v6
	v_lshl_add_u64 v[10:11], v[10:11], 3, v[2:3]
	v_lshl_add_u64 v[10:11], v[6:7], 3, v[10:11]
	global_load_dwordx2 v[10:11], v[10:11], off
	v_add_u32_e32 v1, 0x78, v1
	v_cmp_lt_u32_e32 vcc, s15, v1
	s_or_b64 s[12:13], vcc, s[12:13]
	s_waitcnt vmcnt(0)
	ds_write_b64 v8, v[10:11]
	v_add_u32_e32 v8, 0x3c0, v8
	s_andn2_b64 exec, exec, s[12:13]
	s_cbranch_execnz .LBB0_15
.LBB0_16:
	s_or_b64 exec, exec, s[10:11]
	s_mov_b64 s[10:11], 0
.LBB0_17:
	s_and_b64 vcc, exec, s[10:11]
	s_cbranch_vccz .LBB0_19
; %bb.18:
	v_mul_u32_u24_e32 v1, 0xf10, v0
	v_lshrrev_b32_e32 v1, 16, v1
	v_mul_lo_u16_e32 v2, 17, v1
	v_sub_u16_e32 v3, v0, v2
	v_mad_u64_u32 v[6:7], s[10:11], s20, v3, 0
	v_mov_b32_e32 v2, v7
	v_mad_u64_u32 v[2:3], s[10:11], s21, v3, v[2:3]
	v_mov_b32_e32 v7, v2
	v_lshl_add_u64 v[4:5], s[0:1], 0, v[4:5]
	v_mul_lo_u32 v2, s22, v1
	v_mov_b32_e32 v3, 0
	v_lshl_add_u64 v[6:7], v[6:7], 3, v[4:5]
	v_add_u32_e32 v1, 0x78, v0
	v_lshl_add_u64 v[6:7], v[2:3], 3, v[6:7]
	v_mul_u32_u24_e32 v2, 0xf10, v1
	v_lshrrev_b32_e32 v12, 16, v2
	v_mul_lo_u16_e32 v2, 17, v12
	v_sub_u16_e32 v1, v1, v2
	v_mad_u64_u32 v[8:9], s[0:1], s20, v1, 0
	v_mov_b32_e32 v2, v9
	v_mad_u64_u32 v[10:11], s[0:1], s21, v1, v[2:3]
	v_mov_b32_e32 v9, v10
	v_mul_lo_u32 v2, s22, v12
	v_lshl_add_u64 v[8:9], v[8:9], 3, v[4:5]
	v_add_u32_e32 v1, 0xf0, v0
	v_lshl_add_u64 v[8:9], v[2:3], 3, v[8:9]
	v_mul_u32_u24_e32 v2, 0xf10, v1
	v_lshrrev_b32_e32 v14, 16, v2
	v_mul_lo_u16_e32 v2, 17, v14
	v_sub_u16_e32 v1, v1, v2
	v_mad_u64_u32 v[10:11], s[0:1], s20, v1, 0
	v_mov_b32_e32 v2, v11
	v_mad_u64_u32 v[12:13], s[0:1], s21, v1, v[2:3]
	v_mov_b32_e32 v11, v12
	v_mul_lo_u32 v2, s22, v14
	v_lshl_add_u64 v[10:11], v[10:11], 3, v[4:5]
	v_add_u32_e32 v1, 0x168, v0
	v_lshl_add_u64 v[10:11], v[2:3], 3, v[10:11]
	v_mul_u32_u24_e32 v2, 0xf10, v1
	v_lshrrev_b32_e32 v16, 16, v2
	v_mul_lo_u16_e32 v2, 17, v16
	v_sub_u16_e32 v1, v1, v2
	v_mad_u64_u32 v[12:13], s[0:1], s20, v1, 0
	v_mov_b32_e32 v2, v13
	v_mad_u64_u32 v[14:15], s[0:1], s21, v1, v[2:3]
	v_mov_b32_e32 v13, v14
	v_mul_lo_u32 v2, s22, v16
	v_lshl_add_u64 v[12:13], v[12:13], 3, v[4:5]
	v_add_u32_e32 v1, 0x1e0, v0
	v_lshl_add_u64 v[12:13], v[2:3], 3, v[12:13]
	v_mul_u32_u24_e32 v2, 0xf10, v1
	global_load_dwordx2 v[14:15], v[6:7], off
	global_load_dwordx2 v[16:17], v[8:9], off
	global_load_dwordx2 v[18:19], v[10:11], off
	global_load_dwordx2 v[20:21], v[12:13], off
	v_lshrrev_b32_e32 v10, 16, v2
	v_mul_lo_u16_e32 v2, 17, v10
	v_sub_u16_e32 v1, v1, v2
	v_mad_u64_u32 v[6:7], s[0:1], s20, v1, 0
	v_mov_b32_e32 v2, v7
	v_mad_u64_u32 v[8:9], s[0:1], s21, v1, v[2:3]
	v_mov_b32_e32 v7, v8
	v_mul_lo_u32 v2, s22, v10
	v_lshl_add_u64 v[6:7], v[6:7], 3, v[4:5]
	v_add_u32_e32 v1, 0x258, v0
	v_lshl_add_u64 v[6:7], v[2:3], 3, v[6:7]
	v_mul_u32_u24_e32 v2, 0xf10, v1
	v_lshrrev_b32_e32 v12, 16, v2
	v_mul_lo_u16_e32 v2, 17, v12
	v_sub_u16_e32 v1, v1, v2
	v_mad_u64_u32 v[8:9], s[0:1], s20, v1, 0
	v_mov_b32_e32 v2, v9
	v_mad_u64_u32 v[10:11], s[0:1], s21, v1, v[2:3]
	v_mov_b32_e32 v9, v10
	v_mul_lo_u32 v2, s22, v12
	v_lshl_add_u64 v[8:9], v[8:9], 3, v[4:5]
	v_add_u32_e32 v1, 0x2d0, v0
	v_lshl_add_u64 v[8:9], v[2:3], 3, v[8:9]
	v_mul_u32_u24_e32 v2, 0xf10, v1
	v_lshrrev_b32_e32 v22, 16, v2
	v_mul_lo_u16_e32 v2, 17, v22
	v_sub_u16_e32 v1, v1, v2
	v_mad_u64_u32 v[10:11], s[0:1], s20, v1, 0
	v_mov_b32_e32 v2, v11
	v_mad_u64_u32 v[12:13], s[0:1], s21, v1, v[2:3]
	v_mov_b32_e32 v11, v12
	v_mul_lo_u32 v2, s22, v22
	v_lshl_add_u64 v[10:11], v[10:11], 3, v[4:5]
	v_add_u32_e32 v1, 0x348, v0
	v_lshl_add_u64 v[10:11], v[2:3], 3, v[10:11]
	v_mul_u32_u24_e32 v2, 0xf10, v1
	v_lshrrev_b32_e32 v24, 16, v2
	v_mul_lo_u16_e32 v2, 17, v24
	v_sub_u16_e32 v1, v1, v2
	v_mad_u64_u32 v[12:13], s[0:1], s20, v1, 0
	v_mov_b32_e32 v2, v13
	v_mad_u64_u32 v[22:23], s[0:1], s21, v1, v[2:3]
	v_mov_b32_e32 v13, v22
	v_mul_lo_u32 v2, s22, v24
	v_lshl_add_u64 v[12:13], v[12:13], 3, v[4:5]
	v_add_u32_e32 v1, 0x3c0, v0
	v_lshl_add_u64 v[12:13], v[2:3], 3, v[12:13]
	v_mul_u32_u24_e32 v2, 0xf10, v1
	global_load_dwordx2 v[22:23], v[6:7], off
	global_load_dwordx2 v[24:25], v[8:9], off
	global_load_dwordx2 v[26:27], v[10:11], off
	global_load_dwordx2 v[28:29], v[12:13], off
	v_lshrrev_b32_e32 v10, 16, v2
	v_mul_lo_u16_e32 v2, 17, v10
	v_sub_u16_e32 v1, v1, v2
	v_mad_u64_u32 v[6:7], s[0:1], s20, v1, 0
	v_mov_b32_e32 v2, v7
	v_mad_u64_u32 v[8:9], s[0:1], s21, v1, v[2:3]
	v_mov_b32_e32 v7, v8
	v_mul_lo_u32 v2, s22, v10
	;; [unrolled: 52-line block ×3, first 2 shown]
	v_lshl_add_u64 v[6:7], v[6:7], 3, v[4:5]
	v_add_u32_e32 v1, 0x618, v0
	v_lshl_add_u64 v[6:7], v[2:3], 3, v[6:7]
	v_mul_u32_u24_e32 v2, 0xf10, v1
	v_lshrrev_b32_e32 v12, 16, v2
	v_mul_lo_u16_e32 v2, 17, v12
	v_sub_u16_e32 v1, v1, v2
	v_mad_u64_u32 v[8:9], s[0:1], s20, v1, 0
	v_mov_b32_e32 v2, v9
	v_mad_u64_u32 v[10:11], s[0:1], s21, v1, v[2:3]
	v_mov_b32_e32 v9, v10
	v_mul_lo_u32 v2, s22, v12
	v_lshl_add_u64 v[8:9], v[8:9], 3, v[4:5]
	v_add_u32_e32 v1, 0x690, v0
	v_lshl_add_u64 v[8:9], v[2:3], 3, v[8:9]
	v_mul_u32_u24_e32 v2, 0xf10, v1
	v_lshrrev_b32_e32 v38, 16, v2
	v_mul_lo_u16_e32 v2, 17, v38
	v_sub_u16_e32 v1, v1, v2
	v_mad_u64_u32 v[10:11], s[0:1], s20, v1, 0
	v_mov_b32_e32 v2, v11
	v_mad_u64_u32 v[12:13], s[0:1], s21, v1, v[2:3]
	v_mov_b32_e32 v11, v12
	v_mul_lo_u32 v2, s22, v38
	;; [unrolled: 12-line block ×3, first 2 shown]
	v_lshl_add_u64 v[12:13], v[12:13], 3, v[4:5]
	v_or_b32_e32 v1, 0x780, v0
	v_lshl_add_u64 v[12:13], v[2:3], 3, v[12:13]
	v_mul_u32_u24_e32 v2, 0xf10, v1
	global_load_dwordx2 v[38:39], v[6:7], off
	global_load_dwordx2 v[40:41], v[8:9], off
	global_load_dwordx2 v[42:43], v[10:11], off
	global_load_dwordx2 v[44:45], v[12:13], off
	v_lshrrev_b32_e32 v10, 16, v2
	v_mul_lo_u16_e32 v2, 17, v10
	v_sub_u16_e32 v1, v1, v2
	v_mad_u64_u32 v[6:7], s[0:1], s20, v1, 0
	v_mov_b32_e32 v2, v7
	v_mad_u64_u32 v[8:9], s[0:1], s21, v1, v[2:3]
	v_mov_b32_e32 v7, v8
	v_mul_lo_u32 v2, s22, v10
	v_lshl_add_u64 v[4:5], v[6:7], 3, v[4:5]
	v_lshl_add_u64 v[2:3], v[2:3], 3, v[4:5]
	global_load_dwordx2 v[2:3], v[2:3], off
	v_lshl_add_u32 v1, v0, 3, 0
	v_add_u32_e32 v4, 0x400, v1
	s_waitcnt vmcnt(13)
	ds_write2_b64 v4, v[18:19], v[20:21] offset0:112 offset1:232
	v_add_u32_e32 v4, 0xc00, v1
	s_waitcnt vmcnt(11)
	ds_write2_b64 v4, v[22:23], v[24:25] offset0:96 offset1:216
	;; [unrolled: 3-line block ×5, first 2 shown]
	v_add_u32_e32 v4, 0x2c00, v1
	ds_write2_b64 v1, v[14:15], v[16:17] offset1:120
	s_waitcnt vmcnt(3)
	ds_write2_b64 v4, v[38:39], v[40:41] offset0:32 offset1:152
	v_add_u32_e32 v4, 0x3400, v1
	s_waitcnt vmcnt(1)
	ds_write2_b64 v4, v[42:43], v[44:45] offset0:16 offset1:136
	s_waitcnt vmcnt(0)
	ds_write_b64 v1, v[2:3] offset:15360
.LBB0_19:
	v_add_u32_e32 v1, s19, v0
	s_mov_b32 s0, 0x88888889
	v_mul_hi_u32 v2, v1, s0
	v_lshrrev_b32_e32 v2, 6, v2
	s_movk_i32 s0, 0x78
	v_mul_lo_u32 v2, v2, s0
	v_sub_u32_e32 v1, v1, v2
	s_movk_i32 s0, 0x88
	v_mad_u32_u24 v1, v1, s0, 0
	s_waitcnt lgkmcnt(0)
	s_barrier
	ds_read2_b64 v[6:9], v1 offset0:6 offset1:7
	ds_read2_b64 v[10:13], v1 offset0:8 offset1:9
	;; [unrolled: 1-line block ×5, first 2 shown]
	ds_read_b64 v[34:35], v1 offset:128
	ds_read2_b64 v[26:29], v1 offset0:4 offset1:5
	ds_read2_b64 v[2:5], v1 offset1:1
	ds_read2_b64 v[30:33], v1 offset0:2 offset1:3
	s_waitcnt lgkmcnt(6)
	v_pk_add_f32 v[66:67], v[16:17], v[6:7]
	v_pk_add_f32 v[36:37], v[6:7], v[16:17] neg_lo:[0,1] neg_hi:[0,1]
	v_pk_add_f32 v[62:63], v[14:15], v[8:9]
	s_waitcnt lgkmcnt(1)
	v_pk_add_f32 v[40:41], v[2:3], v[4:5]
	s_waitcnt lgkmcnt(0)
	v_pk_add_f32 v[96:97], v[24:25], v[30:31]
	v_pk_add_f32 v[38:39], v[30:31], v[24:25] neg_lo:[0,1] neg_hi:[0,1]
	v_pk_add_f32 v[30:31], v[40:41], v[30:31]
	v_pk_add_f32 v[42:43], v[8:9], v[14:15] neg_lo:[0,1] neg_hi:[0,1]
	v_pk_add_f32 v[30:31], v[30:31], v[32:33]
	v_pk_add_f32 v[98:99], v[34:35], v[4:5]
	;; [unrolled: 1-line block ×3, first 2 shown]
	s_mov_b32 s0, 0xbeb8f4ab
	v_pk_add_f32 v[30:31], v[30:31], v[28:29]
	s_mov_b32 s1, 0x3f6eb680
	v_pk_add_f32 v[6:7], v[30:31], v[6:7]
	;; [unrolled: 2-line block ×3, first 2 shown]
	v_pk_add_f32 v[8:9], v[4:5], v[34:35] neg_lo:[0,1] neg_hi:[0,1]
	v_pk_add_f32 v[4:5], v[6:7], v[10:11]
	s_mov_b32 s41, s0
	v_pk_add_f32 v[4:5], v[4:5], v[12:13]
	v_pk_add_f32 v[60:61], v[12:13], v[10:11]
	;; [unrolled: 1-line block ×3, first 2 shown]
	v_pk_add_f32 v[48:49], v[10:11], v[12:13] neg_lo:[0,1] neg_hi:[0,1]
	v_pk_add_f32 v[4:5], v[4:5], v[16:17]
	s_mov_b32 s10, 0xbf2c7751
	v_pk_add_f32 v[4:5], v[4:5], v[18:19]
	s_mov_b32 s11, 0x3f3d2fb0
	;; [unrolled: 2-line block ×4, first 2 shown]
	v_pk_add_f32 v[4:5], v[4:5], v[24:25]
	v_pk_add_f32 v[92:93], v[18:19], v[28:29]
	;; [unrolled: 1-line block ×3, first 2 shown]
	v_mov_b32_e32 v5, v99
	v_mov_b32_e32 v99, v8
	;; [unrolled: 1-line block ×3, first 2 shown]
	v_pk_mul_f32 v[8:9], v[98:99], s[40:41]
	v_pk_add_f32 v[30:31], v[28:29], v[18:19] neg_lo:[0,1] neg_hi:[0,1]
	v_pk_fma_f32 v[10:11], v[4:5], s[0:1], v[8:9] neg_lo:[1,0,0] neg_hi:[1,0,0]
	v_pk_fma_f32 v[6:7], v[4:5], s[0:1], v[8:9]
	v_accvgpr_write_b32 a0, v8
	v_mov_b32_e32 v11, v7
	v_pk_add_f32 v[16:17], v[2:3], v[10:11]
	v_mov_b32_e32 v11, v97
	v_mov_b32_e32 v97, v38
	v_accvgpr_write_b32 a1, v9
	v_mov_b32_e32 v10, v39
	v_pk_mul_f32 v[8:9], v[96:97], s[52:53]
	s_mov_b32 s12, 0xbf65296c
	v_pk_fma_f32 v[18:19], v[10:11], s[10:11], v[8:9] neg_lo:[1,0,0] neg_hi:[1,0,0]
	v_pk_fma_f32 v[12:13], v[10:11], s[10:11], v[8:9]
	v_pk_add_f32 v[84:85], v[22:23], v[32:33]
	v_pk_add_f32 v[32:33], v[32:33], v[22:23] neg_lo:[0,1] neg_hi:[0,1]
	v_mov_b32_e32 v19, v13
	s_mov_b32 s13, 0x3ee437d1
	v_accvgpr_write_b32 a2, v8
	v_pk_add_f32 v[22:23], v[18:19], v[16:17]
	v_mov_b32_e32 v17, v85
	v_mov_b32_e32 v85, v32
	s_mov_b32 s60, s13
	s_mov_b32 s61, s12
	v_accvgpr_write_b32 a3, v9
	v_mov_b32_e32 v16, v33
	v_pk_mul_f32 v[8:9], v[84:85], s[60:61]
	s_mov_b32 s14, 0xbf7ee86f
	v_pk_fma_f32 v[24:25], v[16:17], s[12:13], v[8:9] neg_lo:[1,0,0] neg_hi:[1,0,0]
	v_pk_fma_f32 v[18:19], v[16:17], s[12:13], v[8:9]
	v_pk_add_f32 v[90:91], v[20:21], v[26:27]
	v_pk_add_f32 v[26:27], v[26:27], v[20:21] neg_lo:[0,1] neg_hi:[0,1]
	v_mov_b32_e32 v25, v19
	s_mov_b32 s15, 0x3dbcf732
	v_accvgpr_write_b32 a4, v8
	v_pk_add_f32 v[28:29], v[24:25], v[22:23]
	v_mov_b32_e32 v23, v91
	v_mov_b32_e32 v91, v26
	s_mov_b32 s50, s15
	s_mov_b32 s51, s14
	v_accvgpr_write_b32 a5, v9
	v_mov_b32_e32 v22, v27
	v_pk_mul_f32 v[8:9], v[90:91], s[50:51]
	s_mov_b32 s20, 0xbf763a35
	v_pk_fma_f32 v[32:33], v[22:23], s[14:15], v[8:9] neg_lo:[1,0,0] neg_hi:[1,0,0]
	v_pk_fma_f32 v[24:25], v[22:23], s[14:15], v[8:9]
	s_mov_b32 s21, 0xbe8c1d8e
	v_mov_b32_e32 v33, v25
	v_accvgpr_write_b32 a6, v8
	v_pk_add_f32 v[34:35], v[32:33], v[28:29]
	v_mov_b32_e32 v29, v93
	v_mov_b32_e32 v93, v30
	s_mov_b32 s38, s21
	s_mov_b32 s39, s20
	v_accvgpr_write_b32 a7, v9
	v_mov_b32_e32 v28, v31
	v_pk_mul_f32 v[8:9], v[92:93], s[38:39]
	s_mov_b32 s22, 0xbf4c4adb
	v_pk_fma_f32 v[38:39], v[28:29], s[20:21], v[8:9] neg_lo:[1,0,0] neg_hi:[1,0,0]
	v_pk_fma_f32 v[30:31], v[28:29], s[20:21], v[8:9]
	s_mov_b32 s23, 0xbf1a4643
	v_mov_b32_e32 v39, v31
	;; [unrolled: 14-line block ×4, first 2 shown]
	v_accvgpr_write_b32 a13, v9
	v_pk_add_f32 v[54:55], v[50:51], v[46:47]
	v_mov_b32_e32 v47, v61
	v_mov_b32_e32 v61, v48
	s_mov_b32 s54, s27
	s_mov_b32 s55, s26
	v_accvgpr_write_b32 a12, v8
	v_mov_b32_e32 v46, v49
	v_pk_mul_f32 v[8:9], v[60:61], s[54:55]
	s_nop 0
	v_pk_fma_f32 v[56:57], v[46:47], s[26:27], v[8:9] neg_lo:[1,0,0] neg_hi:[1,0,0]
	v_pk_fma_f32 v[48:49], v[46:47], s[26:27], v[8:9]
	v_accvgpr_write_b32 a15, v9
	v_accvgpr_write_b32 a14, v8
	v_mov_b32_e32 v57, v49
	v_pk_mul_f32 v[8:9], v[98:99], s[52:53]
	v_pk_add_f32 v[54:55], v[56:57], v[54:55]
	v_accvgpr_write_b32 a17, v9
	s_barrier
	ds_write2_b64 v1, v[52:53], v[54:55] offset1:1
	v_pk_fma_f32 v[64:65], v[4:5], s[10:11], v[8:9] neg_lo:[1,0,0] neg_hi:[1,0,0]
	v_pk_fma_f32 v[52:53], v[4:5], s[10:11], v[8:9]
	v_accvgpr_write_b32 a16, v8
	v_pk_mul_f32 v[8:9], v[96:97], s[50:51]
	v_mov_b32_e32 v65, v53
	v_pk_fma_f32 v[68:69], v[10:11], s[14:15], v[8:9] neg_lo:[1,0,0] neg_hi:[1,0,0]
	v_pk_fma_f32 v[54:55], v[10:11], s[14:15], v[8:9]
	v_accvgpr_write_b32 a19, v9
	v_accvgpr_write_b32 a18, v8
	v_mov_b32_e32 v69, v55
	v_pk_add_f32 v[64:65], v[2:3], v[64:65]
	v_pk_mul_f32 v[8:9], v[84:85], s[42:43]
	v_pk_add_f32 v[68:69], v[68:69], v[64:65]
	v_pk_fma_f32 v[70:71], v[16:17], s[22:23], v[8:9] neg_lo:[1,0,0] neg_hi:[1,0,0]
	v_pk_fma_f32 v[64:65], v[16:17], s[22:23], v[8:9]
	v_accvgpr_write_b32 a21, v9
	v_accvgpr_write_b32 a20, v8
	v_mov_b32_e32 v71, v65
	v_pk_mul_f32 v[8:9], v[90:91], s[54:55]
	s_mov_b32 s28, 0x3f06c442
	v_pk_add_f32 v[70:71], v[70:71], v[68:69]
	v_pk_fma_f32 v[76:77], v[22:23], s[26:27], v[8:9] neg_lo:[1,0,0] neg_hi:[1,0,0]
	v_pk_fma_f32 v[68:69], v[22:23], s[26:27], v[8:9]
	v_accvgpr_write_b32 a23, v9
	s_mov_b32 s68, s25
	s_mov_b32 s69, s28
	v_accvgpr_write_b32 a22, v8
	v_mov_b32_e32 v77, v69
	s_mov_b32 s29, s25
	v_pk_mul_f32 v[8:9], v[92:93], s[68:69]
	s_mov_b32 s30, 0x3f763a35
	v_pk_add_f32 v[76:77], v[76:77], v[70:71]
	v_pk_fma_f32 v[80:81], v[28:29], s[28:29], v[8:9] neg_lo:[1,0,0] neg_hi:[1,0,0]
	v_pk_fma_f32 v[70:71], v[28:29], s[28:29], v[8:9]
	s_mov_b32 s66, s21
	s_mov_b32 s67, s30
	v_mov_b32_e32 v81, v71
	s_mov_b32 s31, s21
	v_pk_mul_f32 v[56:57], v[66:67], s[66:67]
	s_mov_b32 s34, 0x3f65296c
	v_pk_add_f32 v[80:81], v[80:81], v[76:77]
	v_pk_fma_f32 v[86:87], v[34:35], s[30:31], v[56:57] neg_lo:[1,0,0] neg_hi:[1,0,0]
	v_pk_fma_f32 v[76:77], v[34:35], s[30:31], v[56:57]
	s_mov_b32 s56, s13
	s_mov_b32 s57, s34
	v_mov_b32_e32 v87, v77
	s_mov_b32 s35, s13
	v_pk_mul_f32 v[50:51], v[62:63], s[56:57]
	v_pk_add_f32 v[86:87], v[86:87], v[80:81]
	v_pk_fma_f32 v[94:95], v[40:41], s[34:35], v[50:51] neg_lo:[1,0,0] neg_hi:[1,0,0]
	v_pk_fma_f32 v[80:81], v[40:41], s[34:35], v[50:51]
	s_mov_b32 s36, 0x3eb8f4ab
	v_mov_b32_e32 v95, v81
	s_mov_b32 s62, s1
	s_mov_b32 s63, s36
	v_pk_add_f32 v[100:101], v[94:95], v[86:87]
	s_mov_b32 s37, s1
	v_pk_mul_f32 v[94:95], v[60:61], s[62:63]
	v_pk_mul_f32 v[44:45], v[98:99], s[60:61]
	v_pk_fma_f32 v[102:103], v[46:47], s[36:37], v[94:95] neg_lo:[1,0,0] neg_hi:[1,0,0]
	v_pk_fma_f32 v[86:87], v[46:47], s[36:37], v[94:95]
	v_pk_fma_f32 v[108:109], v[4:5], s[12:13], v[44:45] neg_lo:[1,0,0] neg_hi:[1,0,0]
	v_mov_b32_e32 v103, v87
	v_pk_add_f32 v[132:133], v[102:103], v[100:101]
	v_pk_fma_f32 v[100:101], v[4:5], s[12:13], v[44:45]
	v_pk_mul_f32 v[38:39], v[96:97], s[42:43]
	s_mov_b32 s44, 0x3e3c28d5
	v_mov_b32_e32 v109, v101
	v_pk_fma_f32 v[110:111], v[10:11], s[22:23], v[38:39] neg_lo:[1,0,0] neg_hi:[1,0,0]
	v_pk_fma_f32 v[102:103], v[10:11], s[22:23], v[38:39]
	s_mov_b32 s46, s27
	s_mov_b32 s47, s44
	v_mov_b32_e32 v111, v103
	v_pk_add_f32 v[108:109], v[2:3], v[108:109]
	s_mov_b32 s45, s27
	v_pk_mul_f32 v[32:33], v[84:85], s[46:47]
	v_pk_add_f32 v[110:111], v[110:111], v[108:109]
	v_pk_fma_f32 v[112:113], v[16:17], s[44:45], v[32:33] neg_lo:[1,0,0] neg_hi:[1,0,0]
	v_pk_fma_f32 v[108:109], v[16:17], s[44:45], v[32:33]
	v_pk_mul_f32 v[26:27], v[90:91], s[66:67]
	v_mov_b32_e32 v113, v109
	s_mov_b32 s46, 0x3f2c7751
	v_pk_add_f32 v[112:113], v[112:113], v[110:111]
	v_pk_fma_f32 v[114:115], v[22:23], s[30:31], v[26:27] neg_lo:[1,0,0] neg_hi:[1,0,0]
	v_pk_fma_f32 v[110:111], v[22:23], s[30:31], v[26:27]
	s_mov_b32 s64, s11
	s_mov_b32 s65, s46
	v_mov_b32_e32 v115, v111
	s_mov_b32 s47, s11
	v_pk_mul_f32 v[20:21], v[92:93], s[64:65]
	v_pk_add_f32 v[114:115], v[114:115], v[112:113]
	v_pk_fma_f32 v[120:121], v[28:29], s[46:47], v[20:21] neg_lo:[1,0,0] neg_hi:[1,0,0]
	v_pk_fma_f32 v[112:113], v[28:29], s[46:47], v[20:21]
	v_pk_mul_f32 v[14:15], v[66:67], s[40:41]
	v_mov_b32_e32 v121, v113
	v_accvgpr_write_b32 a25, v9
	v_pk_add_f32 v[120:121], v[120:121], v[114:115]
	v_pk_fma_f32 v[122:123], v[34:35], s[0:1], v[14:15] neg_lo:[1,0,0] neg_hi:[1,0,0]
	v_pk_fma_f32 v[114:115], v[34:35], s[0:1], v[14:15]
	v_accvgpr_write_b32 a24, v8
	v_mov_b32_e32 v123, v115
	v_pk_mul_f32 v[8:9], v[62:63], s[50:51]
	v_pk_add_f32 v[122:123], v[122:123], v[120:121]
	v_pk_fma_f32 v[130:131], v[40:41], s[14:15], v[8:9] neg_lo:[1,0,0] neg_hi:[1,0,0]
	v_pk_fma_f32 v[120:121], v[40:41], s[14:15], v[8:9]
	v_pk_mul_f32 v[138:139], v[96:97], s[54:55]
	v_mov_b32_e32 v131, v121
	v_pk_add_f32 v[134:135], v[130:131], v[122:123]
	v_pk_mul_f32 v[130:131], v[60:61], s[48:49]
	v_pk_fma_f32 v[142:143], v[10:11], s[26:27], v[138:139] neg_lo:[1,0,0] neg_hi:[1,0,0]
	v_pk_fma_f32 v[136:137], v[46:47], s[24:25], v[130:131] neg_lo:[1,0,0] neg_hi:[1,0,0]
	v_pk_fma_f32 v[122:123], v[46:47], s[24:25], v[130:131]
	v_pk_mul_f32 v[148:149], v[84:85], s[66:67]
	v_mov_b32_e32 v137, v123
	v_pk_add_f32 v[134:135], v[136:137], v[134:135]
	v_pk_mul_f32 v[136:137], v[98:99], s[50:51]
	ds_write2_b64 v1, v[132:133], v[134:135] offset0:2 offset1:3
	v_pk_fma_f32 v[140:141], v[4:5], s[14:15], v[136:137] neg_lo:[1,0,0] neg_hi:[1,0,0]
	v_pk_fma_f32 v[132:133], v[4:5], s[14:15], v[136:137]
	v_pk_fma_f32 v[134:135], v[10:11], s[26:27], v[138:139]
	v_mov_b32_e32 v141, v133
	v_mov_b32_e32 v143, v135
	v_pk_add_f32 v[140:141], v[2:3], v[140:141]
	v_pk_fma_f32 v[144:145], v[16:17], s[30:31], v[148:149] neg_lo:[1,0,0] neg_hi:[1,0,0]
	v_pk_add_f32 v[142:143], v[142:143], v[140:141]
	v_pk_fma_f32 v[140:141], v[16:17], s[30:31], v[148:149]
	v_pk_mul_f32 v[150:151], v[90:91], s[62:63]
	v_mov_b32_e32 v145, v141
	v_pk_add_f32 v[144:145], v[144:145], v[142:143]
	v_pk_fma_f32 v[146:147], v[22:23], s[36:37], v[150:151] neg_lo:[1,0,0] neg_hi:[1,0,0]
	v_pk_fma_f32 v[142:143], v[22:23], s[36:37], v[150:151]
	v_pk_mul_f32 v[154:155], v[92:93], s[60:61]
	v_mov_b32_e32 v147, v143
	v_pk_add_f32 v[146:147], v[146:147], v[144:145]
	v_pk_fma_f32 v[152:153], v[28:29], s[12:13], v[154:155] neg_lo:[1,0,0] neg_hi:[1,0,0]
	v_pk_fma_f32 v[144:145], v[28:29], s[12:13], v[154:155]
	v_pk_mul_f32 v[156:157], v[66:67], s[48:49]
	v_mov_b32_e32 v153, v145
	s_mov_b32 s58, 0x3f4c4adb
	v_pk_add_f32 v[152:153], v[152:153], v[146:147]
	v_pk_fma_f32 v[158:159], v[34:35], s[24:25], v[156:157] neg_lo:[1,0,0] neg_hi:[1,0,0]
	v_pk_fma_f32 v[146:147], v[34:35], s[24:25], v[156:157]
	s_mov_b32 s70, s23
	s_mov_b32 s71, s58
	v_mov_b32_e32 v159, v147
	s_mov_b32 s59, s23
	v_pk_mul_f32 v[160:161], v[62:63], s[70:71]
	v_pk_add_f32 v[158:159], v[158:159], v[152:153]
	v_pk_fma_f32 v[162:163], v[40:41], s[58:59], v[160:161] neg_lo:[1,0,0] neg_hi:[1,0,0]
	v_pk_fma_f32 v[152:153], v[40:41], s[58:59], v[160:161]
	v_pk_mul_f32 v[168:169], v[98:99], s[38:39]
	v_mov_b32_e32 v163, v153
	v_pk_add_f32 v[164:165], v[162:163], v[158:159]
	v_pk_mul_f32 v[162:163], v[60:61], s[64:65]
	v_pk_fma_f32 v[172:173], v[4:5], s[20:21], v[168:169] neg_lo:[1,0,0] neg_hi:[1,0,0]
	v_pk_fma_f32 v[166:167], v[46:47], s[46:47], v[162:163] neg_lo:[1,0,0] neg_hi:[1,0,0]
	v_pk_fma_f32 v[158:159], v[46:47], s[46:47], v[162:163]
	v_pk_mul_f32 v[170:171], v[96:97], s[68:69]
	v_mov_b32_e32 v167, v159
	v_pk_add_f32 v[196:197], v[166:167], v[164:165]
	v_pk_fma_f32 v[164:165], v[4:5], s[20:21], v[168:169]
	v_pk_fma_f32 v[174:175], v[10:11], s[28:29], v[170:171] neg_lo:[1,0,0] neg_hi:[1,0,0]
	v_mov_b32_e32 v173, v165
	v_pk_fma_f32 v[166:167], v[10:11], s[28:29], v[170:171]
	v_pk_add_f32 v[172:173], v[2:3], v[172:173]
	v_mov_b32_e32 v175, v167
	v_pk_mul_f32 v[180:181], v[84:85], s[64:65]
	v_pk_add_f32 v[174:175], v[174:175], v[172:173]
	v_pk_fma_f32 v[176:177], v[16:17], s[46:47], v[180:181] neg_lo:[1,0,0] neg_hi:[1,0,0]
	v_pk_fma_f32 v[172:173], v[16:17], s[46:47], v[180:181]
	v_pk_mul_f32 v[182:183], v[90:91], s[60:61]
	v_mov_b32_e32 v177, v173
	v_pk_add_f32 v[176:177], v[176:177], v[174:175]
	v_pk_fma_f32 v[178:179], v[22:23], s[12:13], v[182:183] neg_lo:[1,0,0] neg_hi:[1,0,0]
	v_pk_fma_f32 v[174:175], v[22:23], s[12:13], v[182:183]
	v_pk_mul_f32 v[186:187], v[92:93], s[54:55]
	v_mov_b32_e32 v179, v175
	s_mov_b32 s60, 0x3f7ee86f
	v_pk_add_f32 v[178:179], v[178:179], v[176:177]
	v_pk_fma_f32 v[184:185], v[28:29], s[26:27], v[186:187] neg_lo:[1,0,0] neg_hi:[1,0,0]
	v_pk_fma_f32 v[176:177], v[28:29], s[26:27], v[186:187]
	s_mov_b32 s68, s15
	s_mov_b32 s69, s60
	v_mov_b32_e32 v185, v177
	s_mov_b32 s61, s15
	v_pk_mul_f32 v[190:191], v[66:67], s[68:69]
	v_pk_add_f32 v[184:185], v[184:185], v[178:179]
	v_pk_fma_f32 v[188:189], v[34:35], s[60:61], v[190:191] neg_lo:[1,0,0] neg_hi:[1,0,0]
	v_pk_fma_f32 v[178:179], v[34:35], s[60:61], v[190:191]
	v_pk_mul_f32 v[192:193], v[62:63], s[40:41]
	v_mov_b32_e32 v189, v179
	v_pk_add_f32 v[188:189], v[188:189], v[184:185]
	v_pk_fma_f32 v[194:195], v[40:41], s[0:1], v[192:193] neg_lo:[1,0,0] neg_hi:[1,0,0]
	v_pk_fma_f32 v[184:185], v[40:41], s[0:1], v[192:193]
	v_pk_mul_f32 v[202:203], v[96:97], s[66:67]
	v_mov_b32_e32 v195, v185
	v_pk_add_f32 v[198:199], v[194:195], v[188:189]
	v_pk_mul_f32 v[194:195], v[60:61], s[42:43]
	v_pk_fma_f32 v[206:207], v[10:11], s[30:31], v[202:203] neg_lo:[1,0,0] neg_hi:[1,0,0]
	v_pk_fma_f32 v[200:201], v[46:47], s[22:23], v[194:195] neg_lo:[1,0,0] neg_hi:[1,0,0]
	v_pk_fma_f32 v[188:189], v[46:47], s[22:23], v[194:195]
	v_pk_mul_f32 v[214:215], v[84:85], s[40:41]
	v_mov_b32_e32 v201, v189
	v_pk_add_f32 v[198:199], v[200:201], v[198:199]
	v_pk_mul_f32 v[200:201], v[98:99], s[42:43]
	ds_write2_b64 v1, v[196:197], v[198:199] offset0:4 offset1:5
	v_pk_fma_f32 v[204:205], v[4:5], s[22:23], v[200:201] neg_lo:[1,0,0] neg_hi:[1,0,0]
	v_pk_fma_f32 v[196:197], v[4:5], s[22:23], v[200:201]
	v_pk_fma_f32 v[198:199], v[10:11], s[30:31], v[202:203]
	v_mov_b32_e32 v205, v197
	v_mov_b32_e32 v207, v199
	v_pk_add_f32 v[204:205], v[2:3], v[204:205]
	v_pk_fma_f32 v[208:209], v[16:17], s[0:1], v[214:215] neg_lo:[1,0,0] neg_hi:[1,0,0]
	v_pk_add_f32 v[206:207], v[206:207], v[204:205]
	v_pk_fma_f32 v[204:205], v[16:17], s[0:1], v[214:215]
	v_pk_mul_f32 v[216:217], v[90:91], s[48:49]
	v_mov_b32_e32 v209, v205
	v_pk_add_f32 v[208:209], v[208:209], v[206:207]
	v_pk_fma_f32 v[210:211], v[22:23], s[24:25], v[216:217] neg_lo:[1,0,0] neg_hi:[1,0,0]
	v_pk_fma_f32 v[206:207], v[22:23], s[24:25], v[216:217]
	v_pk_mul_f32 v[220:221], v[92:93], s[68:69]
	v_mov_b32_e32 v211, v207
	v_pk_add_f32 v[210:211], v[210:211], v[208:209]
	v_pk_fma_f32 v[212:213], v[28:29], s[60:61], v[220:221] neg_lo:[1,0,0] neg_hi:[1,0,0]
	;; [unrolled: 5-line block ×5, first 2 shown]
	v_pk_fma_f32 v[218:219], v[46:47], s[34:35], v[230:231]
	v_pk_mul_f32 v[238:239], v[96:97], s[56:57]
	v_mov_b32_e32 v233, v219
	v_pk_add_f32 v[228:229], v[232:233], v[228:229]
	v_pk_mul_f32 v[232:233], v[98:99], s[48:49]
	v_pk_fma_f32 v[240:241], v[10:11], s[34:35], v[238:239] neg_lo:[1,0,0] neg_hi:[1,0,0]
	v_pk_fma_f32 v[234:235], v[4:5], s[24:25], v[232:233] neg_lo:[1,0,0] neg_hi:[1,0,0]
	v_pk_fma_f32 v[236:237], v[4:5], s[24:25], v[232:233]
	v_pk_fma_f32 v[242:243], v[10:11], s[34:35], v[238:239]
	v_mov_b32_e32 v235, v237
	v_mov_b32_e32 v241, v243
	v_pk_add_f32 v[234:235], v[2:3], v[234:235]
	v_pk_mul_f32 v[96:97], v[96:97], s[62:63]
	v_pk_add_f32 v[234:235], v[240:241], v[234:235]
	v_pk_mul_f32 v[240:241], v[84:85], s[50:51]
	v_pk_fma_f32 v[88:89], v[10:11], s[36:37], v[96:97]
	v_pk_fma_f32 v[244:245], v[16:17], s[14:15], v[240:241] neg_lo:[1,0,0] neg_hi:[1,0,0]
	v_pk_fma_f32 v[246:247], v[16:17], s[14:15], v[240:241]
	v_pk_mul_f32 v[84:85], v[84:85], s[48:49]
	v_mov_b32_e32 v245, v247
	v_pk_add_f32 v[234:235], v[244:245], v[234:235]
	v_pk_mul_f32 v[244:245], v[90:91], s[70:71]
	v_pk_fma_f32 v[104:105], v[16:17], s[24:25], v[84:85]
	v_pk_fma_f32 v[248:249], v[22:23], s[58:59], v[244:245] neg_lo:[1,0,0] neg_hi:[1,0,0]
	v_pk_fma_f32 v[250:251], v[22:23], s[58:59], v[244:245]
	v_pk_mul_f32 v[90:91], v[90:91], s[64:65]
	v_mov_b32_e32 v249, v251
	;; [unrolled: 7-line block ×6, first 2 shown]
	v_pk_add_f32 v[72:73], v[78:79], v[72:73]
	ds_write2_b64 v1, v[228:229], v[72:73] offset0:6 offset1:7
	v_pk_mul_f32 v[72:73], v[98:99], s[54:55]
	v_pk_fma_f32 v[228:229], v[10:11], s[36:37], v[96:97] neg_lo:[1,0,0] neg_hi:[1,0,0]
	v_pk_fma_f32 v[78:79], v[4:5], s[26:27], v[72:73] neg_lo:[1,0,0] neg_hi:[1,0,0]
	v_pk_fma_f32 v[98:99], v[4:5], s[26:27], v[72:73]
	v_mov_b32_e32 v229, v89
	v_mov_b32_e32 v79, v99
	v_pk_add_f32 v[78:79], v[2:3], v[78:79]
	v_pk_fma_f32 v[72:73], v[4:5], s[26:27], v[72:73] neg_lo:[0,0,1] neg_hi:[0,0,1]
	v_pk_add_f32 v[78:79], v[228:229], v[78:79]
	v_pk_fma_f32 v[228:229], v[16:17], s[24:25], v[84:85] neg_lo:[1,0,0] neg_hi:[1,0,0]
	v_pk_fma_f32 v[126:127], v[46:47], s[60:61], v[60:61]
	v_mov_b32_e32 v229, v105
	v_pk_add_f32 v[78:79], v[228:229], v[78:79]
	v_pk_fma_f32 v[228:229], v[22:23], s[46:47], v[90:91] neg_lo:[1,0,0] neg_hi:[1,0,0]
	v_mov_b32_e32 v99, v73
	v_mov_b32_e32 v229, v107
	v_pk_add_f32 v[78:79], v[228:229], v[78:79]
	v_pk_fma_f32 v[228:229], v[28:29], s[22:23], v[92:93] neg_lo:[1,0,0] neg_hi:[1,0,0]
	v_pk_fma_f32 v[72:73], v[10:11], s[36:37], v[96:97] neg_lo:[0,0,1] neg_hi:[0,0,1]
	v_mov_b32_e32 v229, v117
	v_pk_add_f32 v[78:79], v[228:229], v[78:79]
	v_pk_fma_f32 v[228:229], v[34:35], s[34:35], v[66:67] neg_lo:[1,0,0] neg_hi:[1,0,0]
	v_mov_b32_e32 v89, v73
	v_mov_b32_e32 v229, v119
	v_pk_add_f32 v[78:79], v[228:229], v[78:79]
	v_pk_fma_f32 v[228:229], v[40:41], s[20:21], v[62:63] neg_lo:[1,0,0] neg_hi:[1,0,0]
	v_pk_fma_f32 v[72:73], v[16:17], s[24:25], v[84:85] neg_lo:[0,0,1] neg_hi:[0,0,1]
	v_mov_b32_e32 v229, v125
	v_pk_add_f32 v[78:79], v[228:229], v[78:79]
	v_pk_fma_f32 v[228:229], v[46:47], s[60:61], v[60:61] neg_lo:[1,0,0] neg_hi:[1,0,0]
	v_pk_fma_f32 v[60:61], v[46:47], s[60:61], v[60:61] neg_lo:[0,0,1] neg_hi:[0,0,1]
	v_mov_b32_e32 v229, v127
	v_mov_b32_e32 v127, v61
	v_pk_add_f32 v[60:61], v[2:3], v[98:99]
	v_mov_b32_e32 v105, v73
	v_pk_fma_f32 v[72:73], v[22:23], s[46:47], v[90:91] neg_lo:[0,0,1] neg_hi:[0,0,1]
	v_pk_add_f32 v[60:61], v[88:89], v[60:61]
	v_mov_b32_e32 v107, v73
	v_pk_fma_f32 v[72:73], v[28:29], s[22:23], v[92:93] neg_lo:[0,0,1] neg_hi:[0,0,1]
	;; [unrolled: 3-line block ×4, first 2 shown]
	v_pk_add_f32 v[60:61], v[116:117], v[60:61]
	v_mov_b32_e32 v125, v63
	v_pk_add_f32 v[60:61], v[118:119], v[60:61]
	v_pk_add_f32 v[78:79], v[228:229], v[78:79]
	;; [unrolled: 1-line block ×3, first 2 shown]
	v_pk_fma_f32 v[14:15], v[34:35], s[0:1], v[14:15] neg_lo:[0,0,1] neg_hi:[0,0,1]
	v_pk_add_f32 v[60:61], v[126:127], v[60:61]
	ds_write2_b64 v1, v[78:79], v[60:61] offset0:8 offset1:9
	v_pk_fma_f32 v[60:61], v[4:5], s[24:25], v[232:233] neg_lo:[0,0,1] neg_hi:[0,0,1]
	v_mov_b32_e32 v115, v15
	v_mov_b32_e32 v237, v61
	v_pk_fma_f32 v[60:61], v[10:11], s[34:35], v[238:239] neg_lo:[0,0,1] neg_hi:[0,0,1]
	v_accvgpr_read_b32 v14, a16
	v_mov_b32_e32 v243, v61
	v_pk_fma_f32 v[60:61], v[16:17], s[14:15], v[240:241] neg_lo:[0,0,1] neg_hi:[0,0,1]
	v_accvgpr_read_b32 v15, a17
	v_mov_b32_e32 v247, v61
	v_pk_fma_f32 v[60:61], v[22:23], s[58:59], v[244:245] neg_lo:[0,0,1] neg_hi:[0,0,1]
	v_pk_fma_f32 v[14:15], v[4:5], s[10:11], v[14:15] neg_lo:[0,0,1] neg_hi:[0,0,1]
	v_mov_b32_e32 v251, v61
	v_pk_fma_f32 v[60:61], v[28:29], s[0:1], v[248:249] neg_lo:[0,0,1] neg_hi:[0,0,1]
	v_mov_b32_e32 v53, v15
	v_accvgpr_read_b32 v14, a18
	v_mov_b32_e32 v255, v61
	v_pk_fma_f32 v[60:61], v[34:35], s[26:27], v[252:253] neg_lo:[0,0,1] neg_hi:[0,0,1]
	v_accvgpr_read_b32 v15, a19
	v_mov_b32_e32 v59, v61
	v_pk_fma_f32 v[60:61], v[40:41], s[46:47], v[234:235] neg_lo:[0,0,1] neg_hi:[0,0,1]
	v_pk_fma_f32 v[14:15], v[10:11], s[14:15], v[14:15] neg_lo:[0,0,1] neg_hi:[0,0,1]
	v_mov_b32_e32 v75, v61
	v_pk_fma_f32 v[60:61], v[46:47], s[20:21], v[224:225] neg_lo:[0,0,1] neg_hi:[0,0,1]
	v_mov_b32_e32 v55, v15
	v_accvgpr_read_b32 v14, a20
	v_mov_b32_e32 v83, v61
	v_pk_add_f32 v[60:61], v[2:3], v[236:237]
	v_accvgpr_read_b32 v15, a21
	v_pk_add_f32 v[60:61], v[242:243], v[60:61]
	v_pk_fma_f32 v[14:15], v[16:17], s[22:23], v[14:15] neg_lo:[0,0,1] neg_hi:[0,0,1]
	v_pk_add_f32 v[60:61], v[246:247], v[60:61]
	v_mov_b32_e32 v65, v15
	v_accvgpr_read_b32 v14, a22
	v_pk_add_f32 v[60:61], v[250:251], v[60:61]
	v_accvgpr_read_b32 v15, a23
	v_pk_add_f32 v[60:61], v[254:255], v[60:61]
	v_pk_fma_f32 v[14:15], v[22:23], s[26:27], v[14:15] neg_lo:[0,0,1] neg_hi:[0,0,1]
	v_pk_add_f32 v[58:59], v[58:59], v[60:61]
	v_pk_fma_f32 v[60:61], v[4:5], s[22:23], v[200:201] neg_lo:[0,0,1] neg_hi:[0,0,1]
	v_mov_b32_e32 v69, v15
	v_accvgpr_read_b32 v14, a24
	v_mov_b32_e32 v197, v61
	v_pk_fma_f32 v[60:61], v[10:11], s[30:31], v[202:203] neg_lo:[0,0,1] neg_hi:[0,0,1]
	v_accvgpr_read_b32 v15, a25
	v_mov_b32_e32 v199, v61
	v_pk_fma_f32 v[60:61], v[16:17], s[0:1], v[214:215] neg_lo:[0,0,1] neg_hi:[0,0,1]
	v_pk_fma_f32 v[14:15], v[28:29], s[28:29], v[14:15] neg_lo:[0,0,1] neg_hi:[0,0,1]
	v_mov_b32_e32 v205, v61
	v_pk_fma_f32 v[60:61], v[22:23], s[24:25], v[216:217] neg_lo:[0,0,1] neg_hi:[0,0,1]
	v_mov_b32_e32 v71, v15
	;; [unrolled: 2-line block ×3, first 2 shown]
	v_pk_fma_f32 v[60:61], v[28:29], s[60:61], v[220:221] neg_lo:[0,0,1] neg_hi:[0,0,1]
	v_pk_fma_f32 v[44:45], v[4:5], s[12:13], v[44:45] neg_lo:[0,0,1] neg_hi:[0,0,1]
	;; [unrolled: 1-line block ×3, first 2 shown]
	v_mov_b32_e32 v77, v15
	v_pk_fma_f32 v[14:15], v[40:41], s[34:35], v[50:51] neg_lo:[0,0,1] neg_hi:[0,0,1]
	v_mov_b32_e32 v209, v61
	v_pk_fma_f32 v[60:61], v[34:35], s[10:11], v[222:223] neg_lo:[0,0,1] neg_hi:[0,0,1]
	;; [unrolled: 2-line block ×7, first 2 shown]
	v_mov_b32_e32 v123, v9
	v_pk_add_f32 v[8:9], v[2:3], v[100:101]
	v_mov_b32_e32 v87, v15
	v_pk_add_f32 v[14:15], v[2:3], v[52:53]
	v_mov_b32_e32 v213, v61
	v_pk_fma_f32 v[60:61], v[46:47], s[34:35], v[230:231] neg_lo:[0,0,1] neg_hi:[0,0,1]
	v_mov_b32_e32 v109, v33
	v_pk_fma_f32 v[26:27], v[22:23], s[30:31], v[26:27] neg_lo:[0,0,1] neg_hi:[0,0,1]
	v_pk_add_f32 v[8:9], v[102:103], v[8:9]
	v_pk_add_f32 v[14:15], v[54:55], v[14:15]
	v_mov_b32_e32 v219, v61
	v_pk_add_f32 v[60:61], v[2:3], v[196:197]
	v_mov_b32_e32 v111, v27
	v_pk_fma_f32 v[20:21], v[28:29], s[46:47], v[20:21] neg_lo:[0,0,1] neg_hi:[0,0,1]
	v_pk_add_f32 v[8:9], v[108:109], v[8:9]
	v_pk_add_f32 v[14:15], v[64:65], v[14:15]
	;; [unrolled: 1-line block ×3, first 2 shown]
	v_mov_b32_e32 v113, v21
	v_pk_add_f32 v[8:9], v[110:111], v[8:9]
	v_pk_add_f32 v[14:15], v[68:69], v[14:15]
	v_pk_add_f32 v[60:61], v[204:205], v[60:61]
	v_pk_add_f32 v[8:9], v[112:113], v[8:9]
	v_pk_add_f32 v[14:15], v[70:71], v[14:15]
	v_pk_add_f32 v[60:61], v[206:207], v[60:61]
	v_pk_add_f32 v[8:9], v[114:115], v[8:9]
	v_pk_add_f32 v[14:15], v[76:77], v[14:15]
	v_pk_add_f32 v[60:61], v[208:209], v[60:61]
	v_pk_add_f32 v[8:9], v[120:121], v[8:9]
	v_pk_add_f32 v[14:15], v[80:81], v[14:15]
	v_pk_add_f32 v[60:61], v[210:211], v[60:61]
	v_pk_add_f32 v[8:9], v[122:123], v[8:9]
	v_pk_add_f32 v[14:15], v[86:87], v[14:15]
	v_pk_add_f32 v[58:59], v[74:75], v[58:59]
	v_pk_add_f32 v[60:61], v[212:213], v[60:61]
	ds_write2_b64 v1, v[8:9], v[14:15] offset0:14 offset1:15
	v_accvgpr_read_b32 v9, a1
	v_pk_add_f32 v[58:59], v[82:83], v[58:59]
	v_pk_add_f32 v[60:61], v[218:219], v[60:61]
	v_accvgpr_read_b32 v8, a0
	ds_write2_b64 v1, v[58:59], v[60:61] offset0:10 offset1:11
	v_pk_fma_f32 v[58:59], v[4:5], s[20:21], v[168:169] neg_lo:[0,0,1] neg_hi:[0,0,1]
	v_pk_fma_f32 v[60:61], v[4:5], s[14:15], v[136:137] neg_lo:[0,0,1] neg_hi:[0,0,1]
	;; [unrolled: 1-line block ×3, first 2 shown]
	v_mov_b32_e32 v165, v59
	v_mov_b32_e32 v7, v5
	v_accvgpr_read_b32 v5, a3
	v_accvgpr_read_b32 v4, a2
	v_pk_fma_f32 v[4:5], v[10:11], s[10:11], v[4:5] neg_lo:[0,0,1] neg_hi:[0,0,1]
	v_pk_fma_f32 v[58:59], v[10:11], s[28:29], v[170:171] neg_lo:[0,0,1] neg_hi:[0,0,1]
	v_mov_b32_e32 v13, v5
	v_accvgpr_read_b32 v4, a4
	v_accvgpr_read_b32 v5, a5
	v_pk_fma_f32 v[4:5], v[16:17], s[12:13], v[4:5] neg_lo:[0,0,1] neg_hi:[0,0,1]
	v_mov_b32_e32 v133, v61
	v_mov_b32_e32 v19, v5
	v_accvgpr_read_b32 v4, a6
	v_accvgpr_read_b32 v5, a7
	v_pk_fma_f32 v[60:61], v[10:11], s[26:27], v[138:139] neg_lo:[0,0,1] neg_hi:[0,0,1]
	v_pk_fma_f32 v[4:5], v[22:23], s[14:15], v[4:5] neg_lo:[0,0,1] neg_hi:[0,0,1]
	v_mov_b32_e32 v167, v59
	v_pk_fma_f32 v[58:59], v[16:17], s[46:47], v[180:181] neg_lo:[0,0,1] neg_hi:[0,0,1]
	v_mov_b32_e32 v135, v61
	;; [unrolled: 2-line block ×3, first 2 shown]
	v_accvgpr_read_b32 v4, a8
	v_mov_b32_e32 v173, v59
	v_pk_fma_f32 v[58:59], v[22:23], s[12:13], v[182:183] neg_lo:[0,0,1] neg_hi:[0,0,1]
	v_mov_b32_e32 v141, v61
	v_pk_fma_f32 v[60:61], v[22:23], s[36:37], v[150:151] neg_lo:[0,0,1] neg_hi:[0,0,1]
	v_accvgpr_read_b32 v5, a9
	v_mov_b32_e32 v175, v59
	v_pk_fma_f32 v[58:59], v[28:29], s[26:27], v[186:187] neg_lo:[0,0,1] neg_hi:[0,0,1]
	v_mov_b32_e32 v143, v61
	v_pk_fma_f32 v[60:61], v[28:29], s[12:13], v[154:155] neg_lo:[0,0,1] neg_hi:[0,0,1]
	v_pk_fma_f32 v[4:5], v[28:29], s[20:21], v[4:5] neg_lo:[0,0,1] neg_hi:[0,0,1]
	v_mov_b32_e32 v177, v59
	v_pk_fma_f32 v[58:59], v[34:35], s[60:61], v[190:191] neg_lo:[0,0,1] neg_hi:[0,0,1]
	v_mov_b32_e32 v145, v61
	;; [unrolled: 2-line block ×3, first 2 shown]
	v_accvgpr_read_b32 v4, a10
	v_mov_b32_e32 v179, v59
	v_pk_fma_f32 v[58:59], v[40:41], s[0:1], v[192:193] neg_lo:[0,0,1] neg_hi:[0,0,1]
	v_mov_b32_e32 v147, v61
	v_pk_fma_f32 v[60:61], v[40:41], s[58:59], v[160:161] neg_lo:[0,0,1] neg_hi:[0,0,1]
	v_accvgpr_read_b32 v5, a11
	v_mov_b32_e32 v185, v59
	v_pk_fma_f32 v[58:59], v[46:47], s[22:23], v[194:195] neg_lo:[0,0,1] neg_hi:[0,0,1]
	v_mov_b32_e32 v153, v61
	v_pk_fma_f32 v[60:61], v[46:47], s[46:47], v[162:163] neg_lo:[0,0,1] neg_hi:[0,0,1]
	v_pk_fma_f32 v[4:5], v[34:35], s[22:23], v[4:5] neg_lo:[0,0,1] neg_hi:[0,0,1]
	v_mov_b32_e32 v189, v59
	v_pk_add_f32 v[58:59], v[2:3], v[164:165]
	v_mov_b32_e32 v159, v61
	v_pk_add_f32 v[60:61], v[2:3], v[132:133]
	v_pk_add_f32 v[2:3], v[2:3], v[6:7]
	v_mov_b32_e32 v37, v5
	v_accvgpr_read_b32 v4, a12
	v_pk_add_f32 v[58:59], v[166:167], v[58:59]
	v_pk_add_f32 v[60:61], v[134:135], v[60:61]
	;; [unrolled: 1-line block ×3, first 2 shown]
	v_accvgpr_read_b32 v5, a13
	v_pk_add_f32 v[58:59], v[172:173], v[58:59]
	v_pk_add_f32 v[60:61], v[140:141], v[60:61]
	;; [unrolled: 1-line block ×3, first 2 shown]
	v_pk_fma_f32 v[4:5], v[40:41], s[24:25], v[4:5] neg_lo:[0,0,1] neg_hi:[0,0,1]
	v_pk_add_f32 v[58:59], v[174:175], v[58:59]
	v_pk_add_f32 v[60:61], v[142:143], v[60:61]
	;; [unrolled: 1-line block ×3, first 2 shown]
	v_mov_b32_e32 v43, v5
	v_accvgpr_read_b32 v4, a14
	v_pk_add_f32 v[58:59], v[176:177], v[58:59]
	v_pk_add_f32 v[60:61], v[144:145], v[60:61]
	;; [unrolled: 1-line block ×3, first 2 shown]
	v_accvgpr_read_b32 v5, a15
	v_pk_add_f32 v[58:59], v[178:179], v[58:59]
	v_pk_add_f32 v[60:61], v[146:147], v[60:61]
	;; [unrolled: 1-line block ×3, first 2 shown]
	v_pk_fma_f32 v[4:5], v[46:47], s[26:27], v[4:5] neg_lo:[0,0,1] neg_hi:[0,0,1]
	v_pk_add_f32 v[58:59], v[184:185], v[58:59]
	v_pk_add_f32 v[60:61], v[152:153], v[60:61]
	;; [unrolled: 1-line block ×3, first 2 shown]
	v_mov_b32_e32 v49, v5
	v_pk_add_f32 v[58:59], v[188:189], v[58:59]
	v_pk_add_f32 v[60:61], v[158:159], v[60:61]
	;; [unrolled: 1-line block ×3, first 2 shown]
	s_mov_b32 s0, 0x2222223
	ds_write2_b64 v1, v[58:59], v[60:61] offset0:12 offset1:13
	ds_write_b64 v1, v[2:3] offset:128
	v_mul_hi_u32 v1, v0, s0
	v_mul_u32_u24_e32 v2, 0x78, v1
	v_sub_u32_e32 v0, v0, v2
	v_add_u32_e32 v2, s19, v0
	v_cmp_gt_u32_e32 vcc, s33, v2
	s_or_b64 s[0:1], s[8:9], vcc
	s_waitcnt lgkmcnt(0)
	s_barrier
	s_and_saveexec_b64 s[8:9], s[0:1]
	s_cbranch_execz .LBB0_21
; %bb.20:
	v_mad_u64_u32 v[4:5], s[0:1], s16, v0, 0
	v_mul_lo_u32 v2, s5, v128
	v_mul_hi_u32 v3, s4, v128
	v_mov_b32_e32 v6, v5
	v_add_u32_e32 v3, v3, v2
	v_mul_lo_u32 v2, s4, v128
	v_mad_u64_u32 v[6:7], s[0:1], s17, v0, v[6:7]
	v_mul_lo_u32 v8, v1, s18
	v_mul_i32_i24_e32 v0, 0x88, v0
	v_lshlrev_b32_e32 v1, 3, v1
	v_add3_u32 v14, 0, v0, v1
	v_lshlrev_b64 v[0:1], 3, v[2:3]
	v_mov_b32_e32 v5, v6
	v_lshl_add_u64 v[6:7], s[2:3], 0, v[0:1]
	s_lshl_b64 s[0:1], s[6:7], 3
	ds_read2_b64 v[0:3], v14 offset1:1
	v_lshl_add_u64 v[6:7], v[6:7], 0, s[0:1]
	v_lshl_add_u64 v[10:11], v[4:5], 3, v[6:7]
	ds_read2_b64 v[4:7], v14 offset0:2 offset1:3
	v_mov_b32_e32 v9, 0
	v_lshl_add_u64 v[12:13], v[8:9], 3, v[10:11]
	v_add_u32_e32 v8, s18, v8
	s_waitcnt lgkmcnt(1)
	global_store_dwordx2 v[12:13], v[0:1], off
	v_lshl_add_u64 v[0:1], v[8:9], 3, v[10:11]
	v_add_u32_e32 v8, s18, v8
	global_store_dwordx2 v[0:1], v[2:3], off
	v_lshl_add_u64 v[0:1], v[8:9], 3, v[10:11]
	s_waitcnt lgkmcnt(0)
	global_store_dwordx2 v[0:1], v[4:5], off
	v_add_u32_e32 v8, s18, v8
	ds_read2_b64 v[0:3], v14 offset0:4 offset1:5
	v_lshl_add_u64 v[4:5], v[8:9], 3, v[10:11]
	global_store_dwordx2 v[4:5], v[6:7], off
	ds_read2_b64 v[4:7], v14 offset0:6 offset1:7
	v_add_u32_e32 v8, s18, v8
	v_lshl_add_u64 v[12:13], v[8:9], 3, v[10:11]
	v_add_u32_e32 v8, s18, v8
	s_waitcnt lgkmcnt(1)
	global_store_dwordx2 v[12:13], v[0:1], off
	v_lshl_add_u64 v[0:1], v[8:9], 3, v[10:11]
	v_add_u32_e32 v8, s18, v8
	global_store_dwordx2 v[0:1], v[2:3], off
	v_lshl_add_u64 v[0:1], v[8:9], 3, v[10:11]
	s_waitcnt lgkmcnt(0)
	global_store_dwordx2 v[0:1], v[4:5], off
	v_add_u32_e32 v8, s18, v8
	ds_read2_b64 v[0:3], v14 offset0:8 offset1:9
	v_lshl_add_u64 v[4:5], v[8:9], 3, v[10:11]
	global_store_dwordx2 v[4:5], v[6:7], off
	ds_read2_b64 v[4:7], v14 offset0:10 offset1:11
	v_add_u32_e32 v8, s18, v8
	;; [unrolled: 16-line block ×3, first 2 shown]
	v_lshl_add_u64 v[12:13], v[8:9], 3, v[10:11]
	v_add_u32_e32 v8, s18, v8
	s_waitcnt lgkmcnt(1)
	global_store_dwordx2 v[12:13], v[0:1], off
	v_lshl_add_u64 v[0:1], v[8:9], 3, v[10:11]
	v_add_u32_e32 v8, s18, v8
	global_store_dwordx2 v[0:1], v[2:3], off
	v_lshl_add_u64 v[0:1], v[8:9], 3, v[10:11]
	s_waitcnt lgkmcnt(0)
	global_store_dwordx2 v[0:1], v[4:5], off
	ds_read_b64 v[0:1], v14 offset:128
	v_add_u32_e32 v8, s18, v8
	v_lshl_add_u64 v[2:3], v[8:9], 3, v[10:11]
	v_add_u32_e32 v8, s18, v8
	global_store_dwordx2 v[2:3], v[6:7], off
	v_lshl_add_u64 v[2:3], v[8:9], 3, v[10:11]
	s_waitcnt lgkmcnt(0)
	global_store_dwordx2 v[2:3], v[0:1], off
.LBB0_21:
	s_endpgm
	.section	.rodata,"a",@progbits
	.p2align	6, 0x0
	.amdhsa_kernel fft_rtc_fwd_len17_factors_17_wgs_120_tpt_1_sp_op_CI_CI_sbrc_unaligned
		.amdhsa_group_segment_fixed_size 0
		.amdhsa_private_segment_fixed_size 0
		.amdhsa_kernarg_size 104
		.amdhsa_user_sgpr_count 2
		.amdhsa_user_sgpr_dispatch_ptr 0
		.amdhsa_user_sgpr_queue_ptr 0
		.amdhsa_user_sgpr_kernarg_segment_ptr 1
		.amdhsa_user_sgpr_dispatch_id 0
		.amdhsa_user_sgpr_kernarg_preload_length 0
		.amdhsa_user_sgpr_kernarg_preload_offset 0
		.amdhsa_user_sgpr_private_segment_size 0
		.amdhsa_uses_dynamic_stack 0
		.amdhsa_enable_private_segment 0
		.amdhsa_system_sgpr_workgroup_id_x 1
		.amdhsa_system_sgpr_workgroup_id_y 0
		.amdhsa_system_sgpr_workgroup_id_z 0
		.amdhsa_system_sgpr_workgroup_info 0
		.amdhsa_system_vgpr_workitem_id 0
		.amdhsa_next_free_vgpr 282
		.amdhsa_next_free_sgpr 72
		.amdhsa_accum_offset 256
		.amdhsa_reserve_vcc 1
		.amdhsa_float_round_mode_32 0
		.amdhsa_float_round_mode_16_64 0
		.amdhsa_float_denorm_mode_32 3
		.amdhsa_float_denorm_mode_16_64 3
		.amdhsa_dx10_clamp 1
		.amdhsa_ieee_mode 1
		.amdhsa_fp16_overflow 0
		.amdhsa_tg_split 0
		.amdhsa_exception_fp_ieee_invalid_op 0
		.amdhsa_exception_fp_denorm_src 0
		.amdhsa_exception_fp_ieee_div_zero 0
		.amdhsa_exception_fp_ieee_overflow 0
		.amdhsa_exception_fp_ieee_underflow 0
		.amdhsa_exception_fp_ieee_inexact 0
		.amdhsa_exception_int_div_zero 0
	.end_amdhsa_kernel
	.text
.Lfunc_end0:
	.size	fft_rtc_fwd_len17_factors_17_wgs_120_tpt_1_sp_op_CI_CI_sbrc_unaligned, .Lfunc_end0-fft_rtc_fwd_len17_factors_17_wgs_120_tpt_1_sp_op_CI_CI_sbrc_unaligned
                                        ; -- End function
	.section	.AMDGPU.csdata,"",@progbits
; Kernel info:
; codeLenInByte = 8916
; NumSgprs: 78
; NumVgprs: 256
; NumAgprs: 26
; TotalNumVgprs: 282
; ScratchSize: 0
; MemoryBound: 0
; FloatMode: 240
; IeeeMode: 1
; LDSByteSize: 0 bytes/workgroup (compile time only)
; SGPRBlocks: 9
; VGPRBlocks: 35
; NumSGPRsForWavesPerEU: 78
; NumVGPRsForWavesPerEU: 282
; AccumOffset: 256
; Occupancy: 1
; WaveLimiterHint : 1
; COMPUTE_PGM_RSRC2:SCRATCH_EN: 0
; COMPUTE_PGM_RSRC2:USER_SGPR: 2
; COMPUTE_PGM_RSRC2:TRAP_HANDLER: 0
; COMPUTE_PGM_RSRC2:TGID_X_EN: 1
; COMPUTE_PGM_RSRC2:TGID_Y_EN: 0
; COMPUTE_PGM_RSRC2:TGID_Z_EN: 0
; COMPUTE_PGM_RSRC2:TIDIG_COMP_CNT: 0
; COMPUTE_PGM_RSRC3_GFX90A:ACCUM_OFFSET: 63
; COMPUTE_PGM_RSRC3_GFX90A:TG_SPLIT: 0
	.text
	.p2alignl 6, 3212836864
	.fill 256, 4, 3212836864
	.type	__hip_cuid_73d3e2b1ab52704c,@object ; @__hip_cuid_73d3e2b1ab52704c
	.section	.bss,"aw",@nobits
	.globl	__hip_cuid_73d3e2b1ab52704c
__hip_cuid_73d3e2b1ab52704c:
	.byte	0                               ; 0x0
	.size	__hip_cuid_73d3e2b1ab52704c, 1

	.ident	"AMD clang version 19.0.0git (https://github.com/RadeonOpenCompute/llvm-project roc-6.4.0 25133 c7fe45cf4b819c5991fe208aaa96edf142730f1d)"
	.section	".note.GNU-stack","",@progbits
	.addrsig
	.addrsig_sym __hip_cuid_73d3e2b1ab52704c
	.amdgpu_metadata
---
amdhsa.kernels:
  - .agpr_count:     26
    .args:
      - .actual_access:  read_only
        .address_space:  global
        .offset:         0
        .size:           8
        .value_kind:     global_buffer
      - .offset:         8
        .size:           8
        .value_kind:     by_value
      - .actual_access:  read_only
        .address_space:  global
        .offset:         16
        .size:           8
        .value_kind:     global_buffer
      - .actual_access:  read_only
        .address_space:  global
        .offset:         24
        .size:           8
        .value_kind:     global_buffer
      - .actual_access:  read_only
        .address_space:  global
        .offset:         32
        .size:           8
        .value_kind:     global_buffer
      - .offset:         40
        .size:           8
        .value_kind:     by_value
      - .actual_access:  read_only
        .address_space:  global
        .offset:         48
        .size:           8
        .value_kind:     global_buffer
      - .actual_access:  read_only
        .address_space:  global
        .offset:         56
        .size:           8
        .value_kind:     global_buffer
      - .offset:         64
        .size:           4
        .value_kind:     by_value
      - .actual_access:  read_only
        .address_space:  global
        .offset:         72
        .size:           8
        .value_kind:     global_buffer
      - .actual_access:  read_only
        .address_space:  global
        .offset:         80
        .size:           8
        .value_kind:     global_buffer
      - .actual_access:  read_only
        .address_space:  global
        .offset:         88
        .size:           8
        .value_kind:     global_buffer
      - .actual_access:  write_only
        .address_space:  global
        .offset:         96
        .size:           8
        .value_kind:     global_buffer
    .group_segment_fixed_size: 0
    .kernarg_segment_align: 8
    .kernarg_segment_size: 104
    .language:       OpenCL C
    .language_version:
      - 2
      - 0
    .max_flat_workgroup_size: 120
    .name:           fft_rtc_fwd_len17_factors_17_wgs_120_tpt_1_sp_op_CI_CI_sbrc_unaligned
    .private_segment_fixed_size: 0
    .sgpr_count:     78
    .sgpr_spill_count: 0
    .symbol:         fft_rtc_fwd_len17_factors_17_wgs_120_tpt_1_sp_op_CI_CI_sbrc_unaligned.kd
    .uniform_work_group_size: 1
    .uses_dynamic_stack: false
    .vgpr_count:     282
    .vgpr_spill_count: 0
    .wavefront_size: 64
amdhsa.target:   amdgcn-amd-amdhsa--gfx950
amdhsa.version:
  - 1
  - 2
...

	.end_amdgpu_metadata
